;; amdgpu-corpus repo=zjin-lcf/HeCBench kind=compiled arch=gfx906 opt=O3
	.amdgcn_target "amdgcn-amd-amdhsa--gfx906"
	.amdhsa_code_object_version 6
	.text
	.protected	_Z13DCT8x8_kernelPfPKfjjj ; -- Begin function _Z13DCT8x8_kernelPfPKfjjj
	.globl	_Z13DCT8x8_kernelPfPKfjjj
	.p2align	8
	.type	_Z13DCT8x8_kernelPfPKfjjj,@function
_Z13DCT8x8_kernelPfPKfjjj:              ; @_Z13DCT8x8_kernelPfPKfjjj
; %bb.0:
	s_load_dwordx4 s[8:11], s[4:5], 0x10
	v_lshlrev_b32_e32 v11, 3, v1
	v_and_b32_e32 v12, 7, v0
	v_lshl_add_u32 v2, s6, 5, v0
	v_lshl_add_u32 v3, s7, 4, v11
	v_xad_u32 v4, v12, 7, v2
	s_waitcnt lgkmcnt(0)
	v_cmp_gt_u32_e32 vcc, s10, v4
	v_or_b32_e32 v4, 7, v3
	v_cmp_gt_u32_e64 s[0:1], s9, v4
	s_and_b64 s[0:1], vcc, s[0:1]
	s_and_saveexec_b64 s[2:3], s[0:1]
	s_cbranch_execz .LBB0_2
; %bb.1:
	s_load_dwordx4 s[0:3], s[4:5], 0x0
	v_mad_u64_u32 v[2:3], s[4:5], s8, v3, v[2:3]
	v_mov_b32_e32 v3, 0
	s_mov_b32 s9, 0
	v_lshlrev_b64 v[2:3], 2, v[2:3]
	s_waitcnt lgkmcnt(0)
	v_mov_b32_e32 v4, s3
	v_add_co_u32_e32 v13, vcc, s2, v2
	v_addc_co_u32_e32 v14, vcc, v4, v3, vcc
	s_lshl_b64 s[2:3], s[8:9], 2
	v_mov_b32_e32 v4, s3
	v_add_co_u32_e32 v15, vcc, s2, v13
	s_lshl_b32 s4, s8, 1
	s_mov_b32 s5, s9
	v_addc_co_u32_e32 v16, vcc, v14, v4, vcc
	s_lshl_b64 s[4:5], s[4:5], 2
	v_mov_b32_e32 v5, s5
	v_add_co_u32_e32 v17, vcc, s4, v13
	s_mul_i32 s6, s8, 3
	s_mov_b32 s7, s9
	v_addc_co_u32_e32 v18, vcc, v14, v5, vcc
	s_lshl_b64 s[6:7], s[6:7], 2
	v_mov_b32_e32 v6, s7
	v_add_co_u32_e32 v19, vcc, s6, v13
	s_lshl_b32 s10, s8, 2
	s_mov_b32 s11, s9
	v_addc_co_u32_e32 v20, vcc, v14, v6, vcc
	s_lshl_b64 s[10:11], s[10:11], 2
	v_mov_b32_e32 v7, s11
	v_add_co_u32_e32 v21, vcc, s10, v13
	s_mul_i32 s12, s8, 5
	s_mov_b32 s13, s9
	v_addc_co_u32_e32 v22, vcc, v14, v7, vcc
	s_lshl_b64 s[12:13], s[12:13], 2
	v_mov_b32_e32 v8, s13
	v_add_co_u32_e32 v23, vcc, s12, v13
	s_mul_i32 s14, s8, 6
	;; [unrolled: 6-line block ×3, first 2 shown]
	v_addc_co_u32_e32 v26, vcc, v14, v9, vcc
	s_lshl_b64 s[8:9], s[8:9], 2
	v_mov_b32_e32 v10, s9
	v_add_co_u32_e32 v27, vcc, s8, v13
	v_addc_co_u32_e32 v28, vcc, v14, v10, vcc
	global_load_dword v29, v[13:14], off
	global_load_dword v30, v[15:16], off
	;; [unrolled: 1-line block ×3, first 2 shown]
                                        ; kill: killed $vgpr13 killed $vgpr14
                                        ; kill: killed $vgpr17 killed $vgpr18
                                        ; kill: killed $vgpr15 killed $vgpr16
	s_nop 0
	global_load_dword v13, v[19:20], off
	global_load_dword v14, v[21:22], off
	;; [unrolled: 1-line block ×5, first 2 shown]
	v_lshlrev_b32_e32 v18, 2, v0
	s_movk_i32 s3, 0x420
	v_or_b32_e32 v11, v11, v12
	v_and_b32_e32 v0, 0x3f8, v0
	v_mad_u32_u24 v18, v1, s3, v18
	v_mul_u32_u24_e32 v1, 0x84, v11
	v_lshl_add_u32 v19, v0, 2, v1
	s_mov_b32 s3, 0x3f0a8bd4
	v_add_co_u32_e32 v2, vcc, s0, v2
	s_waitcnt vmcnt(6)
	ds_write2_b32 v18, v29, v30 offset1:33
	s_waitcnt vmcnt(4)
	ds_write2_b32 v18, v31, v13 offset0:66 offset1:99
	s_waitcnt vmcnt(2)
	ds_write2_b32 v18, v14, v15 offset0:132 offset1:165
	;; [unrolled: 2-line block ×3, first 2 shown]
	ds_read2_b32 v[0:1], v19 offset1:1
	ds_read2_b32 v[11:12], v19 offset0:6 offset1:7
	ds_read2_b32 v[13:14], v19 offset0:2 offset1:3
	;; [unrolled: 1-line block ×3, first 2 shown]
	s_waitcnt lgkmcnt(2)
	v_add_f32_e32 v17, v0, v12
	v_add_f32_e32 v20, v1, v11
	s_waitcnt lgkmcnt(0)
	v_add_f32_e32 v21, v13, v16
	v_add_f32_e32 v22, v14, v15
	v_sub_f32_e32 v0, v0, v12
	v_sub_f32_e32 v1, v11, v1
	v_sub_f32_e32 v11, v13, v16
	v_sub_f32_e32 v12, v15, v14
	v_add_f32_e32 v13, v17, v22
	v_add_f32_e32 v15, v20, v21
	v_sub_f32_e32 v16, v20, v21
	v_sub_f32_e32 v14, v17, v22
	v_add_f32_e32 v17, v15, v13
	v_sub_f32_e32 v13, v13, v15
	v_mul_f32_e32 v15, 0x3fa73d75, v16
	v_mul_f32_e32 v20, 0x3fa73d75, v14
	v_fma_f32 v14, v14, s3, -v15
	v_mul_f32_e32 v15, 0xbf968317, v1
	v_fmac_f32_e32 v20, 0x3f0a8bd4, v16
	v_fmac_f32_e32 v15, 0x3fb18a86, v0
	v_mul_f32_e32 v16, 0x3e8d42af, v1
	v_mul_f32_e32 v21, 0x3fb18a86, v1
	;; [unrolled: 1-line block ×3, first 2 shown]
	v_fmac_f32_e32 v15, 0x3f49234e, v11
	v_fmac_f32_e32 v16, 0x3f968317, v0
	;; [unrolled: 1-line block ×8, first 2 shown]
	v_mul_f32_e32 v17, 0x3eb504f3, v17
	v_mul_f32_e32 v15, 0x3eb504f3, v15
	v_fmac_f32_e32 v16, 0x3f49234e, v12
	v_fmac_f32_e32 v21, 0xbf968317, v12
	;; [unrolled: 1-line block ×3, first 2 shown]
	v_mul_f32_e32 v20, 0x3eb504f3, v20
	v_mul_f32_e32 v13, 0x3eb504f3, v13
	;; [unrolled: 1-line block ×6, first 2 shown]
	ds_write2_b32 v19, v17, v15 offset1:1
	ds_write2_b32 v19, v20, v16 offset0:2 offset1:3
	ds_write2_b32 v19, v13, v21 offset0:4 offset1:5
	;; [unrolled: 1-line block ×3, first 2 shown]
	ds_read2_b32 v[0:1], v18 offset1:33
	ds_read2_b32 v[11:12], v18 offset0:66 offset1:99
	ds_read2_b32 v[13:14], v18 offset0:132 offset1:165
	;; [unrolled: 1-line block ×3, first 2 shown]
	v_mov_b32_e32 v17, s1
	v_addc_co_u32_e32 v3, vcc, v17, v3, vcc
	s_waitcnt lgkmcnt(1)
	v_add_f32_e32 v19, v11, v14
	s_waitcnt lgkmcnt(0)
	v_add_f32_e32 v17, v0, v16
	v_add_f32_e32 v18, v1, v15
	;; [unrolled: 1-line block ×3, first 2 shown]
	v_sub_f32_e32 v0, v0, v16
	v_sub_f32_e32 v1, v15, v1
	;; [unrolled: 1-line block ×4, first 2 shown]
	v_add_f32_e32 v13, v17, v20
	v_sub_f32_e32 v14, v17, v20
	v_add_f32_e32 v15, v18, v19
	v_sub_f32_e32 v16, v18, v19
	v_add_f32_e32 v17, v15, v13
	v_mul_f32_e32 v18, 0x3fa73d75, v14
	v_sub_f32_e32 v13, v13, v15
	v_mul_f32_e32 v15, 0x3fa73d75, v16
	v_fmac_f32_e32 v18, 0x3f0a8bd4, v16
	v_fma_f32 v14, v14, s3, -v15
	v_mul_f32_e32 v15, 0xbf968317, v1
	v_mul_f32_e32 v16, 0x3e8d42af, v1
	;; [unrolled: 1-line block ×4, first 2 shown]
	v_fmac_f32_e32 v15, 0x3fb18a86, v0
	v_fmac_f32_e32 v1, 0x3e8d42af, v0
	;; [unrolled: 1-line block ×8, first 2 shown]
	v_add_co_u32_e32 v0, vcc, s2, v2
	v_mul_f32_e32 v17, 0x3eb504f3, v17
	v_mul_f32_e32 v15, 0x3eb504f3, v15
	v_fmac_f32_e32 v16, 0xbfb18a86, v11
	v_fmac_f32_e32 v19, 0x3e8d42af, v11
	v_mul_f32_e32 v11, 0x3eb504f3, v1
	v_addc_co_u32_e32 v1, vcc, v3, v4, vcc
	global_store_dword v[2:3], v17, off
	global_store_dword v[0:1], v15, off
	v_add_co_u32_e32 v0, vcc, s4, v2
	v_mul_f32_e32 v18, 0x3eb504f3, v18
	v_addc_co_u32_e32 v1, vcc, v3, v5, vcc
	v_fmac_f32_e32 v16, 0x3f49234e, v12
	global_store_dword v[0:1], v18, off
	v_add_co_u32_e32 v0, vcc, s6, v2
	v_mul_f32_e32 v16, 0x3eb504f3, v16
	v_addc_co_u32_e32 v1, vcc, v3, v6, vcc
	global_store_dword v[0:1], v16, off
	v_add_co_u32_e32 v0, vcc, s10, v2
	v_mul_f32_e32 v13, 0x3eb504f3, v13
	v_addc_co_u32_e32 v1, vcc, v3, v7, vcc
	v_fmac_f32_e32 v19, 0xbf968317, v12
	global_store_dword v[0:1], v13, off
	v_add_co_u32_e32 v0, vcc, s12, v2
	v_mul_f32_e32 v19, 0x3eb504f3, v19
	v_addc_co_u32_e32 v1, vcc, v3, v8, vcc
	global_store_dword v[0:1], v19, off
	v_add_co_u32_e32 v0, vcc, s14, v2
	v_mul_f32_e32 v14, 0x3eb504f3, v14
	v_addc_co_u32_e32 v1, vcc, v3, v9, vcc
	global_store_dword v[0:1], v14, off
	v_add_co_u32_e32 v0, vcc, s8, v2
	v_addc_co_u32_e32 v1, vcc, v3, v10, vcc
	global_store_dword v[0:1], v11, off
.LBB0_2:
	s_endpgm
	.section	.rodata,"a",@progbits
	.p2align	6, 0x0
	.amdhsa_kernel _Z13DCT8x8_kernelPfPKfjjj
		.amdhsa_group_segment_fixed_size 2112
		.amdhsa_private_segment_fixed_size 0
		.amdhsa_kernarg_size 28
		.amdhsa_user_sgpr_count 6
		.amdhsa_user_sgpr_private_segment_buffer 1
		.amdhsa_user_sgpr_dispatch_ptr 0
		.amdhsa_user_sgpr_queue_ptr 0
		.amdhsa_user_sgpr_kernarg_segment_ptr 1
		.amdhsa_user_sgpr_dispatch_id 0
		.amdhsa_user_sgpr_flat_scratch_init 0
		.amdhsa_user_sgpr_private_segment_size 0
		.amdhsa_uses_dynamic_stack 0
		.amdhsa_system_sgpr_private_segment_wavefront_offset 0
		.amdhsa_system_sgpr_workgroup_id_x 1
		.amdhsa_system_sgpr_workgroup_id_y 1
		.amdhsa_system_sgpr_workgroup_id_z 0
		.amdhsa_system_sgpr_workgroup_info 0
		.amdhsa_system_vgpr_workitem_id 1
		.amdhsa_next_free_vgpr 32
		.amdhsa_next_free_sgpr 61
		.amdhsa_reserve_vcc 1
		.amdhsa_reserve_flat_scratch 0
		.amdhsa_float_round_mode_32 0
		.amdhsa_float_round_mode_16_64 0
		.amdhsa_float_denorm_mode_32 3
		.amdhsa_float_denorm_mode_16_64 3
		.amdhsa_dx10_clamp 1
		.amdhsa_ieee_mode 1
		.amdhsa_fp16_overflow 0
		.amdhsa_exception_fp_ieee_invalid_op 0
		.amdhsa_exception_fp_denorm_src 0
		.amdhsa_exception_fp_ieee_div_zero 0
		.amdhsa_exception_fp_ieee_overflow 0
		.amdhsa_exception_fp_ieee_underflow 0
		.amdhsa_exception_fp_ieee_inexact 0
		.amdhsa_exception_int_div_zero 0
	.end_amdhsa_kernel
	.text
.Lfunc_end0:
	.size	_Z13DCT8x8_kernelPfPKfjjj, .Lfunc_end0-_Z13DCT8x8_kernelPfPKfjjj
                                        ; -- End function
	.set _Z13DCT8x8_kernelPfPKfjjj.num_vgpr, 32
	.set _Z13DCT8x8_kernelPfPKfjjj.num_agpr, 0
	.set _Z13DCT8x8_kernelPfPKfjjj.numbered_sgpr, 16
	.set _Z13DCT8x8_kernelPfPKfjjj.num_named_barrier, 0
	.set _Z13DCT8x8_kernelPfPKfjjj.private_seg_size, 0
	.set _Z13DCT8x8_kernelPfPKfjjj.uses_vcc, 1
	.set _Z13DCT8x8_kernelPfPKfjjj.uses_flat_scratch, 0
	.set _Z13DCT8x8_kernelPfPKfjjj.has_dyn_sized_stack, 0
	.set _Z13DCT8x8_kernelPfPKfjjj.has_recursion, 0
	.set _Z13DCT8x8_kernelPfPKfjjj.has_indirect_call, 0
	.section	.AMDGPU.csdata,"",@progbits
; Kernel info:
; codeLenInByte = 1252
; TotalNumSgprs: 20
; NumVgprs: 32
; ScratchSize: 0
; MemoryBound: 0
; FloatMode: 240
; IeeeMode: 1
; LDSByteSize: 2112 bytes/workgroup (compile time only)
; SGPRBlocks: 8
; VGPRBlocks: 7
; NumSGPRsForWavesPerEU: 65
; NumVGPRsForWavesPerEU: 32
; Occupancy: 8
; WaveLimiterHint : 0
; COMPUTE_PGM_RSRC2:SCRATCH_EN: 0
; COMPUTE_PGM_RSRC2:USER_SGPR: 6
; COMPUTE_PGM_RSRC2:TRAP_HANDLER: 0
; COMPUTE_PGM_RSRC2:TGID_X_EN: 1
; COMPUTE_PGM_RSRC2:TGID_Y_EN: 1
; COMPUTE_PGM_RSRC2:TGID_Z_EN: 0
; COMPUTE_PGM_RSRC2:TIDIG_COMP_CNT: 1
	.text
	.protected	_Z14IDCT8x8_kernelPfPKfjjj ; -- Begin function _Z14IDCT8x8_kernelPfPKfjjj
	.globl	_Z14IDCT8x8_kernelPfPKfjjj
	.p2align	8
	.type	_Z14IDCT8x8_kernelPfPKfjjj,@function
_Z14IDCT8x8_kernelPfPKfjjj:             ; @_Z14IDCT8x8_kernelPfPKfjjj
; %bb.0:
	s_load_dwordx4 s[8:11], s[4:5], 0x10
	v_lshlrev_b32_e32 v11, 3, v1
	v_and_b32_e32 v12, 7, v0
	v_lshl_add_u32 v2, s6, 5, v0
	v_lshl_add_u32 v3, s7, 4, v11
	v_xad_u32 v4, v12, 7, v2
	s_waitcnt lgkmcnt(0)
	v_cmp_gt_u32_e32 vcc, s10, v4
	v_or_b32_e32 v4, 7, v3
	v_cmp_gt_u32_e64 s[0:1], s9, v4
	s_and_b64 s[0:1], vcc, s[0:1]
	s_and_saveexec_b64 s[2:3], s[0:1]
	s_cbranch_execz .LBB1_2
; %bb.1:
	s_load_dwordx4 s[0:3], s[4:5], 0x0
	v_mad_u64_u32 v[2:3], s[4:5], s8, v3, v[2:3]
	v_mov_b32_e32 v3, 0
	s_mov_b32 s9, 0
	v_lshlrev_b64 v[2:3], 2, v[2:3]
	s_waitcnt lgkmcnt(0)
	v_mov_b32_e32 v4, s3
	v_add_co_u32_e32 v13, vcc, s2, v2
	v_addc_co_u32_e32 v14, vcc, v4, v3, vcc
	s_lshl_b64 s[2:3], s[8:9], 2
	v_mov_b32_e32 v4, s3
	v_add_co_u32_e32 v15, vcc, s2, v13
	s_lshl_b32 s4, s8, 1
	s_mov_b32 s5, s9
	v_addc_co_u32_e32 v16, vcc, v14, v4, vcc
	s_lshl_b64 s[4:5], s[4:5], 2
	v_mov_b32_e32 v5, s5
	v_add_co_u32_e32 v17, vcc, s4, v13
	s_mul_i32 s6, s8, 3
	s_mov_b32 s7, s9
	v_addc_co_u32_e32 v18, vcc, v14, v5, vcc
	s_lshl_b64 s[6:7], s[6:7], 2
	v_mov_b32_e32 v6, s7
	v_add_co_u32_e32 v19, vcc, s6, v13
	s_lshl_b32 s10, s8, 2
	s_mov_b32 s11, s9
	v_addc_co_u32_e32 v20, vcc, v14, v6, vcc
	s_lshl_b64 s[10:11], s[10:11], 2
	v_mov_b32_e32 v7, s11
	v_add_co_u32_e32 v21, vcc, s10, v13
	s_mul_i32 s12, s8, 5
	s_mov_b32 s13, s9
	v_addc_co_u32_e32 v22, vcc, v14, v7, vcc
	s_lshl_b64 s[12:13], s[12:13], 2
	v_mov_b32_e32 v8, s13
	v_add_co_u32_e32 v23, vcc, s12, v13
	s_mul_i32 s14, s8, 6
	s_mov_b32 s15, s9
	v_addc_co_u32_e32 v24, vcc, v14, v8, vcc
	s_lshl_b64 s[14:15], s[14:15], 2
	v_mov_b32_e32 v9, s15
	v_add_co_u32_e32 v25, vcc, s14, v13
	s_mul_i32 s8, s8, 7
	v_addc_co_u32_e32 v26, vcc, v14, v9, vcc
	s_lshl_b64 s[8:9], s[8:9], 2
	v_mov_b32_e32 v10, s9
	v_add_co_u32_e32 v27, vcc, s8, v13
	v_addc_co_u32_e32 v28, vcc, v14, v10, vcc
	global_load_dword v29, v[13:14], off
	global_load_dword v30, v[15:16], off
	;; [unrolled: 1-line block ×3, first 2 shown]
                                        ; kill: killed $vgpr13 killed $vgpr14
                                        ; kill: killed $vgpr17 killed $vgpr18
                                        ; kill: killed $vgpr15 killed $vgpr16
	s_nop 0
	global_load_dword v13, v[19:20], off
	global_load_dword v14, v[21:22], off
	;; [unrolled: 1-line block ×5, first 2 shown]
	v_lshlrev_b32_e32 v18, 2, v0
	s_movk_i32 s3, 0x420
	v_or_b32_e32 v11, v11, v12
	v_and_b32_e32 v0, 0x3f8, v0
	v_mad_u32_u24 v18, v1, s3, v18
	v_mul_u32_u24_e32 v1, 0x84, v11
	v_lshl_add_u32 v19, v0, 2, v1
	s_mov_b32 s3, 0x3f0a8bd4
	s_mov_b32 s5, 0x3f968317
	v_add_co_u32_e32 v2, vcc, s0, v2
	s_waitcnt vmcnt(6)
	ds_write2_b32 v18, v29, v30 offset1:33
	s_waitcnt vmcnt(4)
	ds_write2_b32 v18, v31, v13 offset0:66 offset1:99
	s_waitcnt vmcnt(2)
	ds_write2_b32 v18, v14, v15 offset0:132 offset1:165
	;; [unrolled: 2-line block ×3, first 2 shown]
	ds_read2_b32 v[0:1], v19 offset1:1
	ds_read2_b32 v[11:12], v19 offset0:4 offset1:5
	ds_read2_b32 v[13:14], v19 offset0:6 offset1:7
	ds_read2_b32 v[15:16], v19 offset0:2 offset1:3
	s_waitcnt lgkmcnt(3)
	v_mul_f32_e32 v21, 0x3fb18a86, v1
	s_waitcnt lgkmcnt(2)
	v_add_f32_e32 v17, v0, v11
	s_waitcnt lgkmcnt(1)
	v_mul_f32_e32 v20, 0x3f0a8bd4, v13
	v_sub_f32_e32 v0, v0, v11
	v_mul_f32_e32 v11, 0x3fa73d75, v13
	s_waitcnt lgkmcnt(0)
	v_fmac_f32_e32 v20, 0x3fa73d75, v15
	v_fma_f32 v11, v15, s3, -v11
	v_add_f32_e32 v22, v17, v20
	v_sub_f32_e32 v17, v17, v20
	v_mul_f32_e32 v20, 0xbe8d42af, v1
	v_add_f32_e32 v13, v0, v11
	v_sub_f32_e32 v0, v0, v11
	v_mul_f32_e32 v11, 0x3f49234e, v14
	v_fmac_f32_e32 v21, 0x3e8d42af, v14
	v_fmac_f32_e32 v20, 0x3fb18a86, v14
	v_fma_f32 v11, v1, s5, -v11
	v_mul_f32_e32 v1, 0x3f49234e, v1
	v_fmac_f32_e32 v21, 0x3f968317, v16
	v_fmac_f32_e32 v20, 0x3f49234e, v16
	v_fmac_f32_e32 v11, 0xbe8d42af, v16
	v_fmac_f32_e32 v1, 0x3f968317, v14
	v_fmac_f32_e32 v21, 0x3f49234e, v12
	v_fmac_f32_e32 v20, 0xbf968317, v12
	v_fmac_f32_e32 v11, 0xbfb18a86, v12
	v_fmac_f32_e32 v1, 0xbfb18a86, v16
	v_fmac_f32_e32 v1, 0x3e8d42af, v12
	v_add_f32_e32 v12, v22, v21
	v_add_f32_e32 v15, v17, v20
	v_sub_f32_e32 v16, v17, v20
	v_add_f32_e32 v17, v13, v11
	v_mul_f32_e32 v12, 0x3eb504f3, v12
	v_sub_f32_e32 v14, v22, v21
	v_mul_f32_e32 v17, 0x3eb504f3, v17
	v_sub_f32_e32 v20, v0, v1
	v_add_f32_e32 v0, v0, v1
	v_sub_f32_e32 v1, v13, v11
	v_mul_f32_e32 v14, 0x3eb504f3, v14
	v_mul_f32_e32 v15, 0x3eb504f3, v15
	v_mul_f32_e32 v16, 0x3eb504f3, v16
	v_mul_f32_e32 v20, 0x3eb504f3, v20
	v_mul_f32_e32 v0, 0x3eb504f3, v0
	v_mul_f32_e32 v1, 0x3eb504f3, v1
	ds_write2_b32 v19, v12, v17 offset1:1
	ds_write2_b32 v19, v0, v16 offset0:2 offset1:3
	ds_write2_b32 v19, v15, v20 offset0:4 offset1:5
	ds_write2_b32 v19, v1, v14 offset0:6 offset1:7
	ds_read2_b32 v[0:1], v18 offset1:33
	ds_read2_b32 v[11:12], v18 offset0:66 offset1:99
	ds_read2_b32 v[13:14], v18 offset0:132 offset1:165
	;; [unrolled: 1-line block ×3, first 2 shown]
	v_mov_b32_e32 v17, s1
	v_addc_co_u32_e32 v3, vcc, v17, v3, vcc
	s_waitcnt lgkmcnt(1)
	v_add_f32_e32 v17, v0, v13
	s_waitcnt lgkmcnt(0)
	v_mul_f32_e32 v18, 0x3f0a8bd4, v15
	v_sub_f32_e32 v0, v0, v13
	v_mul_f32_e32 v13, 0x3fa73d75, v15
	v_fmac_f32_e32 v18, 0x3fa73d75, v11
	v_fma_f32 v11, v11, s3, -v13
	v_add_f32_e32 v13, v0, v11
	v_sub_f32_e32 v0, v0, v11
	v_mul_f32_e32 v11, 0x3f49234e, v16
	v_add_f32_e32 v19, v17, v18
	v_sub_f32_e32 v17, v17, v18
	v_mul_f32_e32 v18, 0x3fb18a86, v1
	v_mul_f32_e32 v20, 0xbe8d42af, v1
	v_fma_f32 v11, v1, s5, -v11
	v_mul_f32_e32 v1, 0x3f49234e, v1
	v_fmac_f32_e32 v18, 0x3e8d42af, v16
	v_fmac_f32_e32 v1, 0x3f968317, v16
	;; [unrolled: 1-line block ×11, first 2 shown]
	v_add_f32_e32 v12, v19, v18
	v_sub_f32_e32 v14, v19, v18
	v_sub_f32_e32 v18, v0, v1
	v_add_f32_e32 v0, v0, v1
	v_mul_f32_e32 v19, 0x3eb504f3, v0
	v_sub_f32_e32 v0, v13, v11
	v_add_f32_e32 v15, v17, v20
	v_sub_f32_e32 v16, v17, v20
	v_add_f32_e32 v17, v13, v11
	v_mul_f32_e32 v11, 0x3eb504f3, v0
	v_add_co_u32_e32 v0, vcc, s2, v2
	v_mul_f32_e32 v12, 0x3eb504f3, v12
	v_mul_f32_e32 v17, 0x3eb504f3, v17
	v_addc_co_u32_e32 v1, vcc, v3, v4, vcc
	global_store_dword v[2:3], v12, off
	global_store_dword v[0:1], v17, off
	v_add_co_u32_e32 v0, vcc, s4, v2
	v_addc_co_u32_e32 v1, vcc, v3, v5, vcc
	global_store_dword v[0:1], v19, off
	v_add_co_u32_e32 v0, vcc, s6, v2
	v_mul_f32_e32 v16, 0x3eb504f3, v16
	v_addc_co_u32_e32 v1, vcc, v3, v6, vcc
	global_store_dword v[0:1], v16, off
	v_add_co_u32_e32 v0, vcc, s10, v2
	v_mul_f32_e32 v15, 0x3eb504f3, v15
	;; [unrolled: 4-line block ×3, first 2 shown]
	v_addc_co_u32_e32 v1, vcc, v3, v8, vcc
	global_store_dword v[0:1], v18, off
	v_add_co_u32_e32 v0, vcc, s14, v2
	v_addc_co_u32_e32 v1, vcc, v3, v9, vcc
	global_store_dword v[0:1], v11, off
	v_add_co_u32_e32 v0, vcc, s8, v2
	v_mul_f32_e32 v14, 0x3eb504f3, v14
	v_addc_co_u32_e32 v1, vcc, v3, v10, vcc
	global_store_dword v[0:1], v14, off
.LBB1_2:
	s_endpgm
	.section	.rodata,"a",@progbits
	.p2align	6, 0x0
	.amdhsa_kernel _Z14IDCT8x8_kernelPfPKfjjj
		.amdhsa_group_segment_fixed_size 2112
		.amdhsa_private_segment_fixed_size 0
		.amdhsa_kernarg_size 28
		.amdhsa_user_sgpr_count 6
		.amdhsa_user_sgpr_private_segment_buffer 1
		.amdhsa_user_sgpr_dispatch_ptr 0
		.amdhsa_user_sgpr_queue_ptr 0
		.amdhsa_user_sgpr_kernarg_segment_ptr 1
		.amdhsa_user_sgpr_dispatch_id 0
		.amdhsa_user_sgpr_flat_scratch_init 0
		.amdhsa_user_sgpr_private_segment_size 0
		.amdhsa_uses_dynamic_stack 0
		.amdhsa_system_sgpr_private_segment_wavefront_offset 0
		.amdhsa_system_sgpr_workgroup_id_x 1
		.amdhsa_system_sgpr_workgroup_id_y 1
		.amdhsa_system_sgpr_workgroup_id_z 0
		.amdhsa_system_sgpr_workgroup_info 0
		.amdhsa_system_vgpr_workitem_id 1
		.amdhsa_next_free_vgpr 32
		.amdhsa_next_free_sgpr 61
		.amdhsa_reserve_vcc 1
		.amdhsa_reserve_flat_scratch 0
		.amdhsa_float_round_mode_32 0
		.amdhsa_float_round_mode_16_64 0
		.amdhsa_float_denorm_mode_32 3
		.amdhsa_float_denorm_mode_16_64 3
		.amdhsa_dx10_clamp 1
		.amdhsa_ieee_mode 1
		.amdhsa_fp16_overflow 0
		.amdhsa_exception_fp_ieee_invalid_op 0
		.amdhsa_exception_fp_denorm_src 0
		.amdhsa_exception_fp_ieee_div_zero 0
		.amdhsa_exception_fp_ieee_overflow 0
		.amdhsa_exception_fp_ieee_underflow 0
		.amdhsa_exception_fp_ieee_inexact 0
		.amdhsa_exception_int_div_zero 0
	.end_amdhsa_kernel
	.text
.Lfunc_end1:
	.size	_Z14IDCT8x8_kernelPfPKfjjj, .Lfunc_end1-_Z14IDCT8x8_kernelPfPKfjjj
                                        ; -- End function
	.set _Z14IDCT8x8_kernelPfPKfjjj.num_vgpr, 32
	.set _Z14IDCT8x8_kernelPfPKfjjj.num_agpr, 0
	.set _Z14IDCT8x8_kernelPfPKfjjj.numbered_sgpr, 16
	.set _Z14IDCT8x8_kernelPfPKfjjj.num_named_barrier, 0
	.set _Z14IDCT8x8_kernelPfPKfjjj.private_seg_size, 0
	.set _Z14IDCT8x8_kernelPfPKfjjj.uses_vcc, 1
	.set _Z14IDCT8x8_kernelPfPKfjjj.uses_flat_scratch, 0
	.set _Z14IDCT8x8_kernelPfPKfjjj.has_dyn_sized_stack, 0
	.set _Z14IDCT8x8_kernelPfPKfjjj.has_recursion, 0
	.set _Z14IDCT8x8_kernelPfPKfjjj.has_indirect_call, 0
	.section	.AMDGPU.csdata,"",@progbits
; Kernel info:
; codeLenInByte = 1268
; TotalNumSgprs: 20
; NumVgprs: 32
; ScratchSize: 0
; MemoryBound: 0
; FloatMode: 240
; IeeeMode: 1
; LDSByteSize: 2112 bytes/workgroup (compile time only)
; SGPRBlocks: 8
; VGPRBlocks: 7
; NumSGPRsForWavesPerEU: 65
; NumVGPRsForWavesPerEU: 32
; Occupancy: 8
; WaveLimiterHint : 0
; COMPUTE_PGM_RSRC2:SCRATCH_EN: 0
; COMPUTE_PGM_RSRC2:USER_SGPR: 6
; COMPUTE_PGM_RSRC2:TRAP_HANDLER: 0
; COMPUTE_PGM_RSRC2:TGID_X_EN: 1
; COMPUTE_PGM_RSRC2:TGID_Y_EN: 1
; COMPUTE_PGM_RSRC2:TGID_Z_EN: 0
; COMPUTE_PGM_RSRC2:TIDIG_COMP_CNT: 1
	.section	.AMDGPU.gpr_maximums,"",@progbits
	.set amdgpu.max_num_vgpr, 0
	.set amdgpu.max_num_agpr, 0
	.set amdgpu.max_num_sgpr, 0
	.section	.AMDGPU.csdata,"",@progbits
	.type	__hip_cuid_b413b4563fe9a3a0,@object ; @__hip_cuid_b413b4563fe9a3a0
	.section	.bss,"aw",@nobits
	.globl	__hip_cuid_b413b4563fe9a3a0
__hip_cuid_b413b4563fe9a3a0:
	.byte	0                               ; 0x0
	.size	__hip_cuid_b413b4563fe9a3a0, 1

	.ident	"AMD clang version 22.0.0git (https://github.com/RadeonOpenCompute/llvm-project roc-7.2.4 26084 f58b06dce1f9c15707c5f808fd002e18c2accf7e)"
	.section	".note.GNU-stack","",@progbits
	.addrsig
	.addrsig_sym __hip_cuid_b413b4563fe9a3a0
	.amdgpu_metadata
---
amdhsa.kernels:
  - .args:
      - .actual_access:  write_only
        .address_space:  global
        .offset:         0
        .size:           8
        .value_kind:     global_buffer
      - .actual_access:  read_only
        .address_space:  global
        .offset:         8
        .size:           8
        .value_kind:     global_buffer
      - .offset:         16
        .size:           4
        .value_kind:     by_value
      - .offset:         20
        .size:           4
        .value_kind:     by_value
      - .offset:         24
        .size:           4
        .value_kind:     by_value
    .group_segment_fixed_size: 2112
    .kernarg_segment_align: 8
    .kernarg_segment_size: 28
    .language:       OpenCL C
    .language_version:
      - 2
      - 0
    .max_flat_workgroup_size: 1024
    .name:           _Z13DCT8x8_kernelPfPKfjjj
    .private_segment_fixed_size: 0
    .sgpr_count:     20
    .sgpr_spill_count: 0
    .symbol:         _Z13DCT8x8_kernelPfPKfjjj.kd
    .uniform_work_group_size: 1
    .uses_dynamic_stack: false
    .vgpr_count:     32
    .vgpr_spill_count: 0
    .wavefront_size: 64
  - .args:
      - .actual_access:  write_only
        .address_space:  global
        .offset:         0
        .size:           8
        .value_kind:     global_buffer
      - .actual_access:  read_only
        .address_space:  global
        .offset:         8
        .size:           8
        .value_kind:     global_buffer
      - .offset:         16
        .size:           4
        .value_kind:     by_value
      - .offset:         20
        .size:           4
        .value_kind:     by_value
      - .offset:         24
        .size:           4
        .value_kind:     by_value
    .group_segment_fixed_size: 2112
    .kernarg_segment_align: 8
    .kernarg_segment_size: 28
    .language:       OpenCL C
    .language_version:
      - 2
      - 0
    .max_flat_workgroup_size: 1024
    .name:           _Z14IDCT8x8_kernelPfPKfjjj
    .private_segment_fixed_size: 0
    .sgpr_count:     20
    .sgpr_spill_count: 0
    .symbol:         _Z14IDCT8x8_kernelPfPKfjjj.kd
    .uniform_work_group_size: 1
    .uses_dynamic_stack: false
    .vgpr_count:     32
    .vgpr_spill_count: 0
    .wavefront_size: 64
amdhsa.target:   amdgcn-amd-amdhsa--gfx906
amdhsa.version:
  - 1
  - 2
...

	.end_amdgpu_metadata
